;; amdgpu-corpus repo=ROCm/rocFFT kind=compiled arch=gfx906 opt=O3
	.text
	.amdgcn_target "amdgcn-amd-amdhsa--gfx906"
	.amdhsa_code_object_version 6
	.protected	fft_rtc_back_len44_factors_11_4_wgs_64_tpt_4_halfLds_half_ip_CI_unitstride_sbrr_dirReg ; -- Begin function fft_rtc_back_len44_factors_11_4_wgs_64_tpt_4_halfLds_half_ip_CI_unitstride_sbrr_dirReg
	.globl	fft_rtc_back_len44_factors_11_4_wgs_64_tpt_4_halfLds_half_ip_CI_unitstride_sbrr_dirReg
	.p2align	8
	.type	fft_rtc_back_len44_factors_11_4_wgs_64_tpt_4_halfLds_half_ip_CI_unitstride_sbrr_dirReg,@function
fft_rtc_back_len44_factors_11_4_wgs_64_tpt_4_halfLds_half_ip_CI_unitstride_sbrr_dirReg: ; @fft_rtc_back_len44_factors_11_4_wgs_64_tpt_4_halfLds_half_ip_CI_unitstride_sbrr_dirReg
; %bb.0:
	s_load_dwordx2 s[12:13], s[4:5], 0x50
	s_load_dwordx4 s[8:11], s[4:5], 0x0
	s_load_dwordx2 s[2:3], s[4:5], 0x18
	v_lshrrev_b32_e32 v9, 2, v0
	v_mov_b32_e32 v3, 0
	v_mov_b32_e32 v1, 0
	s_waitcnt lgkmcnt(0)
	v_cmp_lt_u64_e64 s[0:1], s[10:11], 2
	v_lshl_or_b32 v5, s6, 4, v9
	v_mov_b32_e32 v6, v3
	s_and_b64 vcc, exec, s[0:1]
	v_mov_b32_e32 v2, 0
	s_cbranch_vccnz .LBB0_8
; %bb.1:
	s_load_dwordx2 s[0:1], s[4:5], 0x10
	s_add_u32 s6, s2, 8
	s_addc_u32 s7, s3, 0
	v_mov_b32_e32 v1, 0
	v_mov_b32_e32 v2, 0
	s_waitcnt lgkmcnt(0)
	s_add_u32 s14, s0, 8
	s_addc_u32 s15, s1, 0
	s_mov_b64 s[16:17], 1
.LBB0_2:                                ; =>This Inner Loop Header: Depth=1
	s_load_dwordx2 s[18:19], s[14:15], 0x0
                                        ; implicit-def: $vgpr7_vgpr8
	s_waitcnt lgkmcnt(0)
	v_or_b32_e32 v4, s19, v6
	v_cmp_ne_u64_e32 vcc, 0, v[3:4]
	s_and_saveexec_b64 s[0:1], vcc
	s_xor_b64 s[20:21], exec, s[0:1]
	s_cbranch_execz .LBB0_4
; %bb.3:                                ;   in Loop: Header=BB0_2 Depth=1
	v_cvt_f32_u32_e32 v4, s18
	v_cvt_f32_u32_e32 v7, s19
	s_sub_u32 s0, 0, s18
	s_subb_u32 s1, 0, s19
	v_mac_f32_e32 v4, 0x4f800000, v7
	v_rcp_f32_e32 v4, v4
	v_mul_f32_e32 v4, 0x5f7ffffc, v4
	v_mul_f32_e32 v7, 0x2f800000, v4
	v_trunc_f32_e32 v7, v7
	v_mac_f32_e32 v4, 0xcf800000, v7
	v_cvt_u32_f32_e32 v7, v7
	v_cvt_u32_f32_e32 v4, v4
	v_mul_lo_u32 v8, s0, v7
	v_mul_hi_u32 v10, s0, v4
	v_mul_lo_u32 v12, s1, v4
	v_mul_lo_u32 v11, s0, v4
	v_add_u32_e32 v8, v10, v8
	v_add_u32_e32 v8, v8, v12
	v_mul_hi_u32 v10, v4, v11
	v_mul_lo_u32 v12, v4, v8
	v_mul_hi_u32 v14, v4, v8
	v_mul_hi_u32 v13, v7, v11
	v_mul_lo_u32 v11, v7, v11
	v_mul_hi_u32 v15, v7, v8
	v_add_co_u32_e32 v10, vcc, v10, v12
	v_addc_co_u32_e32 v12, vcc, 0, v14, vcc
	v_mul_lo_u32 v8, v7, v8
	v_add_co_u32_e32 v10, vcc, v10, v11
	v_addc_co_u32_e32 v10, vcc, v12, v13, vcc
	v_addc_co_u32_e32 v11, vcc, 0, v15, vcc
	v_add_co_u32_e32 v8, vcc, v10, v8
	v_addc_co_u32_e32 v10, vcc, 0, v11, vcc
	v_add_co_u32_e32 v4, vcc, v4, v8
	v_addc_co_u32_e32 v7, vcc, v7, v10, vcc
	v_mul_lo_u32 v8, s0, v7
	v_mul_hi_u32 v10, s0, v4
	v_mul_lo_u32 v11, s1, v4
	v_mul_lo_u32 v12, s0, v4
	v_add_u32_e32 v8, v10, v8
	v_add_u32_e32 v8, v8, v11
	v_mul_lo_u32 v13, v4, v8
	v_mul_hi_u32 v14, v4, v12
	v_mul_hi_u32 v15, v4, v8
	;; [unrolled: 1-line block ×3, first 2 shown]
	v_mul_lo_u32 v12, v7, v12
	v_mul_hi_u32 v10, v7, v8
	v_add_co_u32_e32 v13, vcc, v14, v13
	v_addc_co_u32_e32 v14, vcc, 0, v15, vcc
	v_mul_lo_u32 v8, v7, v8
	v_add_co_u32_e32 v12, vcc, v13, v12
	v_addc_co_u32_e32 v11, vcc, v14, v11, vcc
	v_addc_co_u32_e32 v10, vcc, 0, v10, vcc
	v_add_co_u32_e32 v8, vcc, v11, v8
	v_addc_co_u32_e32 v10, vcc, 0, v10, vcc
	v_add_co_u32_e32 v4, vcc, v4, v8
	v_addc_co_u32_e32 v10, vcc, v7, v10, vcc
	v_mad_u64_u32 v[7:8], s[0:1], v5, v10, 0
	v_mul_hi_u32 v11, v5, v4
	v_add_co_u32_e32 v12, vcc, v11, v7
	v_addc_co_u32_e32 v13, vcc, 0, v8, vcc
	v_mad_u64_u32 v[7:8], s[0:1], v6, v4, 0
	v_mad_u64_u32 v[10:11], s[0:1], v6, v10, 0
	v_add_co_u32_e32 v4, vcc, v12, v7
	v_addc_co_u32_e32 v4, vcc, v13, v8, vcc
	v_addc_co_u32_e32 v7, vcc, 0, v11, vcc
	v_add_co_u32_e32 v4, vcc, v4, v10
	v_addc_co_u32_e32 v10, vcc, 0, v7, vcc
	v_mul_lo_u32 v11, s19, v4
	v_mul_lo_u32 v12, s18, v10
	v_mad_u64_u32 v[7:8], s[0:1], s18, v4, 0
	v_add3_u32 v8, v8, v12, v11
	v_sub_u32_e32 v11, v6, v8
	v_mov_b32_e32 v12, s19
	v_sub_co_u32_e32 v7, vcc, v5, v7
	v_subb_co_u32_e64 v11, s[0:1], v11, v12, vcc
	v_subrev_co_u32_e64 v12, s[0:1], s18, v7
	v_subbrev_co_u32_e64 v11, s[0:1], 0, v11, s[0:1]
	v_cmp_le_u32_e64 s[0:1], s19, v11
	v_cndmask_b32_e64 v13, 0, -1, s[0:1]
	v_cmp_le_u32_e64 s[0:1], s18, v12
	v_cndmask_b32_e64 v12, 0, -1, s[0:1]
	v_cmp_eq_u32_e64 s[0:1], s19, v11
	v_cndmask_b32_e64 v11, v13, v12, s[0:1]
	v_add_co_u32_e64 v12, s[0:1], 2, v4
	v_addc_co_u32_e64 v13, s[0:1], 0, v10, s[0:1]
	v_add_co_u32_e64 v14, s[0:1], 1, v4
	v_addc_co_u32_e64 v15, s[0:1], 0, v10, s[0:1]
	v_subb_co_u32_e32 v8, vcc, v6, v8, vcc
	v_cmp_ne_u32_e64 s[0:1], 0, v11
	v_cmp_le_u32_e32 vcc, s19, v8
	v_cndmask_b32_e64 v11, v15, v13, s[0:1]
	v_cndmask_b32_e64 v13, 0, -1, vcc
	v_cmp_le_u32_e32 vcc, s18, v7
	v_cndmask_b32_e64 v7, 0, -1, vcc
	v_cmp_eq_u32_e32 vcc, s19, v8
	v_cndmask_b32_e32 v7, v13, v7, vcc
	v_cmp_ne_u32_e32 vcc, 0, v7
	v_cndmask_b32_e64 v7, v14, v12, s[0:1]
	v_cndmask_b32_e32 v8, v10, v11, vcc
	v_cndmask_b32_e32 v7, v4, v7, vcc
.LBB0_4:                                ;   in Loop: Header=BB0_2 Depth=1
	s_andn2_saveexec_b64 s[0:1], s[20:21]
	s_cbranch_execz .LBB0_6
; %bb.5:                                ;   in Loop: Header=BB0_2 Depth=1
	v_cvt_f32_u32_e32 v4, s18
	s_sub_i32 s20, 0, s18
	v_rcp_iflag_f32_e32 v4, v4
	v_mul_f32_e32 v4, 0x4f7ffffe, v4
	v_cvt_u32_f32_e32 v4, v4
	v_mul_lo_u32 v7, s20, v4
	v_mul_hi_u32 v7, v4, v7
	v_add_u32_e32 v4, v4, v7
	v_mul_hi_u32 v4, v5, v4
	v_mul_lo_u32 v7, v4, s18
	v_add_u32_e32 v8, 1, v4
	v_sub_u32_e32 v7, v5, v7
	v_subrev_u32_e32 v10, s18, v7
	v_cmp_le_u32_e32 vcc, s18, v7
	v_cndmask_b32_e32 v7, v7, v10, vcc
	v_cndmask_b32_e32 v4, v4, v8, vcc
	v_add_u32_e32 v8, 1, v4
	v_cmp_le_u32_e32 vcc, s18, v7
	v_cndmask_b32_e32 v7, v4, v8, vcc
	v_mov_b32_e32 v8, v3
.LBB0_6:                                ;   in Loop: Header=BB0_2 Depth=1
	s_or_b64 exec, exec, s[0:1]
	v_mul_lo_u32 v4, v8, s18
	v_mul_lo_u32 v12, v7, s19
	v_mad_u64_u32 v[10:11], s[0:1], v7, s18, 0
	s_load_dwordx2 s[0:1], s[6:7], 0x0
	s_add_u32 s16, s16, 1
	v_add3_u32 v4, v11, v12, v4
	v_sub_co_u32_e32 v5, vcc, v5, v10
	v_subb_co_u32_e32 v4, vcc, v6, v4, vcc
	s_waitcnt lgkmcnt(0)
	v_mul_lo_u32 v4, s0, v4
	v_mul_lo_u32 v6, s1, v5
	v_mad_u64_u32 v[1:2], s[0:1], s0, v5, v[1:2]
	s_addc_u32 s17, s17, 0
	s_add_u32 s6, s6, 8
	v_add3_u32 v2, v6, v2, v4
	v_mov_b32_e32 v4, s10
	v_mov_b32_e32 v5, s11
	s_addc_u32 s7, s7, 0
	v_cmp_ge_u64_e32 vcc, s[16:17], v[4:5]
	s_add_u32 s14, s14, 8
	s_addc_u32 s15, s15, 0
	s_cbranch_vccnz .LBB0_9
; %bb.7:                                ;   in Loop: Header=BB0_2 Depth=1
	v_mov_b32_e32 v5, v7
	v_mov_b32_e32 v6, v8
	s_branch .LBB0_2
.LBB0_8:
	v_mov_b32_e32 v8, v6
	v_mov_b32_e32 v7, v5
.LBB0_9:
	s_lshl_b64 s[0:1], s[10:11], 3
	s_add_u32 s0, s2, s0
	s_addc_u32 s1, s3, s1
	s_load_dwordx2 s[2:3], s[0:1], 0x0
	s_load_dwordx2 s[6:7], s[4:5], 0x20
	v_and_b32_e32 v5, 3, v0
                                        ; implicit-def: $sgpr4
	s_waitcnt lgkmcnt(0)
	v_mul_lo_u32 v3, s2, v8
	v_mul_lo_u32 v4, s3, v7
	v_mad_u64_u32 v[1:2], s[0:1], s2, v7, v[1:2]
	v_cmp_gt_u64_e32 vcc, s[6:7], v[7:8]
	v_cmp_le_u64_e64 s[0:1], s[6:7], v[7:8]
	v_add3_u32 v2, v4, v2, v3
	v_or_b32_e32 v3, 4, v5
	v_or_b32_e32 v4, 8, v5
	s_and_saveexec_b64 s[2:3], s[0:1]
	s_xor_b64 s[0:1], exec, s[2:3]
; %bb.10:
	v_or_b32_e32 v3, 4, v5
	v_or_b32_e32 v4, 8, v5
	s_mov_b32 s4, 0
; %bb.11:
	s_or_saveexec_b64 s[2:3], s[0:1]
	v_lshlrev_b64 v[0:1], 2, v[1:2]
	v_mov_b32_e32 v7, s4
	v_lshlrev_b32_e32 v6, 2, v5
                                        ; implicit-def: $vgpr24
                                        ; implicit-def: $vgpr2
                                        ; implicit-def: $vgpr23
                                        ; implicit-def: $vgpr10
                                        ; implicit-def: $vgpr22
                                        ; implicit-def: $vgpr11
                                        ; implicit-def: $vgpr19
                                        ; implicit-def: $vgpr12
                                        ; implicit-def: $vgpr18
                                        ; implicit-def: $vgpr13
                                        ; implicit-def: $vgpr20
                                        ; implicit-def: $vgpr14
                                        ; implicit-def: $vgpr25
                                        ; implicit-def: $vgpr15
                                        ; implicit-def: $vgpr27
                                        ; implicit-def: $vgpr21
                                        ; implicit-def: $vgpr29
                                        ; implicit-def: $vgpr26
                                        ; implicit-def: $vgpr30
                                        ; implicit-def: $vgpr28
	s_xor_b64 exec, exec, s[2:3]
	s_cbranch_execz .LBB0_13
; %bb.12:
	v_mov_b32_e32 v2, s13
	v_add_co_u32_e64 v7, s[0:1], s12, v0
	v_addc_co_u32_e64 v2, s[0:1], v2, v1, s[0:1]
	v_add_co_u32_e64 v16, s[0:1], v7, v6
	v_addc_co_u32_e64 v17, s[0:1], 0, v2, s[0:1]
	global_load_dword v2, v[16:17], off offset:16
	global_load_dword v10, v[16:17], off offset:32
	;; [unrolled: 1-line block ×10, first 2 shown]
	global_load_dword v7, v[16:17], off
	s_waitcnt vmcnt(10)
	v_lshrrev_b32_e32 v24, 16, v2
	s_waitcnt vmcnt(9)
	v_lshrrev_b32_e32 v23, 16, v10
	;; [unrolled: 2-line block ×10, first 2 shown]
.LBB0_13:
	s_or_b64 exec, exec, s[2:3]
	v_add_f16_e32 v16, v2, v28
	s_mov_b32 s0, 0xb482
	v_sub_f16_e32 v8, v24, v30
	v_mul_f16_e32 v17, 0xbbad, v16
	v_add_f16_e32 v35, v10, v26
	v_fma_f16 v31, v8, s0, v17
	s_movk_i32 s0, 0x3853
	v_sub_f16_e32 v32, v23, v29
	v_mul_f16_e32 v33, 0x3abb, v35
	s_waitcnt vmcnt(0)
	v_add_f16_e32 v31, v31, v7
	v_fma_f16 v34, v32, s0, v33
	v_add_f16_e32 v36, v11, v21
	v_add_f16_e32 v31, v34, v31
	s_mov_b32 s0, 0xba0c
	v_sub_f16_e32 v34, v22, v27
	v_mul_f16_e32 v37, 0xb93d, v36
	v_fma_f16 v38, v34, s0, v37
	v_add_f16_e32 v31, v38, v31
	v_add_f16_e32 v38, v12, v15
	s_movk_i32 s0, 0x3b47
	v_sub_f16_e32 v39, v19, v25
	v_mul_f16_e32 v40, 0x36a6, v38
	v_fma_f16 v41, v39, s0, v40
	v_add_f16_e32 v31, v41, v31
	v_add_f16_e32 v41, v13, v14
	s_mov_b32 s0, 0xbbeb
	v_sub_f16_e32 v42, v18, v20
	v_mul_f16_e32 v43, 0xb08e, v41
	v_fma_f16 v44, v42, s0, v43
	s_mov_b32 s18, 0xbb47b853
	v_add_f16_e32 v31, v44, v31
	s_mov_b32 s6, 0x36a63abb
	v_pk_mul_f16 v44, v8, s18 op_sel_hi:[0,1]
	s_mov_b32 s21, 0xba0cbb47
	v_pk_fma_f16 v45, v16, s6, v44 op_sel_hi:[0,1,1]
	s_mov_b32 s7, 0xb93d36a6
	v_pk_mul_f16 v46, v32, s21 op_sel_hi:[0,1]
	v_pk_add_f16 v45, v45, v7 op_sel_hi:[1,0]
	v_pk_fma_f16 v47, v35, s7, v46 op_sel_hi:[0,1,1]
	s_mov_b32 s23, 0x3482bbeb
	v_pk_add_f16 v45, v47, v45
	s_mov_b32 s10, 0xbbadb08e
	v_pk_mul_f16 v47, v34, s23 op_sel_hi:[0,1]
	v_pk_fma_f16 v48, v36, s10, v47 op_sel_hi:[0,1,1]
	s_mov_b32 s25, 0x3bebba0c
	v_pk_add_f16 v45, v48, v45
	s_mov_b32 s11, 0xb08eb93d
	v_pk_mul_f16 v48, v39, s25 op_sel_hi:[0,1]
	;; [unrolled: 5-line block ×4, first 2 shown]
	s_mov_b32 s17, 0xb08ebbad
	v_pk_fma_f16 v51, v8, s19, v50 op_sel_hi:[0,1,1]
	s_mov_b32 s22, 0x3beb3482
	v_pk_mul_f16 v52, v35, s17 op_sel_hi:[0,1]
	v_pk_add_f16 v51, v51, v7 op_sel_hi:[1,0]
	v_pk_fma_f16 v53, v32, s22, v52 op_sel_hi:[0,1,1]
	s_mov_b32 s20, 0x3abb36a6
	v_pk_add_f16 v51, v53, v51
	s_mov_b32 s26, 0xb8533b47
	v_pk_mul_f16 v53, v36, s20 op_sel_hi:[0,1]
	v_pk_fma_f16 v54, v34, s26, v53 op_sel_hi:[0,1,1]
	s_mov_b32 s24, 0xbbad3abb
	v_pk_add_f16 v51, v54, v51
	s_mov_b32 s28, 0xb482b853
	v_pk_mul_f16 v54, v38, s24 op_sel_hi:[0,1]
	;; [unrolled: 5-line block ×3, first 2 shown]
	v_pk_fma_f16 v56, v42, s30, v55 op_sel_hi:[0,1,1]
	v_pk_add_f16 v51, v56, v51
	v_mul_f16_e32 v56, 0xb482, v8
	v_pk_mul_f16 v8, v8, s19 op_sel_hi:[0,1]
	s_mov_b32 s15, 0xffff
	v_bfi_b32 v17, s15, v17, v50
	v_bfi_b32 v56, s15, v56, v8
	v_pk_add_f16 v17, v17, v56 neg_lo:[0,1] neg_hi:[0,1]
	v_mul_f16_e32 v56, 0x3853, v32
	v_pk_mul_f16 v57, v32, s22 op_sel_hi:[0,1]
	v_bfi_b32 v32, s15, v33, v52
	v_bfi_b32 v33, s15, v56, v57
	v_pk_add_f16 v32, v32, v33 neg_lo:[0,1] neg_hi:[0,1]
	v_pk_add_f16 v17, v17, v7 op_sel_hi:[1,0]
	v_pk_add_f16 v17, v32, v17
	v_mul_f16_e32 v32, 0xba0c, v34
	v_pk_mul_f16 v56, v34, s26 op_sel_hi:[0,1]
	v_bfi_b32 v33, s15, v37, v53
	v_bfi_b32 v32, s15, v32, v56
	v_pk_add_f16 v32, v33, v32 neg_lo:[0,1] neg_hi:[0,1]
	v_pk_add_f16 v17, v32, v17
	v_mul_f16_e32 v32, 0x3b47, v39
	v_pk_mul_f16 v37, v39, s28 op_sel_hi:[0,1]
	v_bfi_b32 v33, s15, v40, v54
	v_bfi_b32 v32, s15, v32, v37
	v_pk_add_f16 v32, v33, v32 neg_lo:[0,1] neg_hi:[0,1]
	;; [unrolled: 6-line block ×3, first 2 shown]
	v_pk_add_f16 v34, v32, v17
	v_add_f16_e32 v17, v2, v7
	v_add_f16_e32 v17, v10, v17
	;; [unrolled: 1-line block ×10, first 2 shown]
	v_sub_f16_e32 v8, v50, v8
	v_alignbit_b32 v33, v31, v51, 16
	v_pack_b32_f16 v31, v17, v45
	v_mul_u32_u24_e32 v17, 44, v9
	v_sub_f16_e32 v9, v52, v57
	v_add_f16_e32 v8, v8, v7
	v_add_f16_e32 v8, v9, v8
	v_sub_f16_e32 v9, v53, v56
	v_add_f16_e32 v8, v9, v8
	v_sub_f16_e32 v9, v54, v37
	;; [unrolled: 2-line block ×3, first 2 shown]
	v_add_f16_e32 v8, v9, v8
	v_pk_fma_f16 v9, v16, s6, v44 op_sel_hi:[0,1,1] neg_lo:[0,0,1] neg_hi:[0,0,1]
	v_pk_fma_f16 v16, v35, s7, v46 op_sel_hi:[0,1,1] neg_lo:[0,0,1] neg_hi:[0,0,1]
	v_pk_add_f16 v9, v9, v7 op_sel_hi:[1,0]
	v_pk_add_f16 v9, v16, v9
	v_pk_fma_f16 v16, v36, s10, v47 op_sel_hi:[0,1,1] neg_lo:[0,0,1] neg_hi:[0,0,1]
	v_pk_add_f16 v9, v16, v9
	v_pk_fma_f16 v16, v38, s11, v48 op_sel_hi:[0,1,1] neg_lo:[0,0,1] neg_hi:[0,0,1]
	;; [unrolled: 2-line block ×3, first 2 shown]
	v_lshl_add_u32 v42, v17, 1, 0
	v_pk_add_f16 v9, v16, v9
	v_alignbit_b32 v32, v51, v45, 16
	v_mad_u32_u24 v39, v5, 22, v42
	v_alignbit_b32 v16, v9, v9, 16
	s_movk_i32 s2, 0xffec
	v_lshl_add_u32 v41, v5, 1, v42
	ds_write_b128 v39, v[31:34]
	ds_write_b32 v39, v16 offset:18
	ds_write_b16 v39, v8 offset:16
	s_waitcnt lgkmcnt(0)
	; wave barrier
	s_waitcnt lgkmcnt(0)
	v_lshl_add_u32 v42, v3, 1, v42
	v_mad_i32_i24 v40, v5, s2, v39
	ds_read_u16 v31, v41
	ds_read_u16 v33, v40 offset:22
	ds_read_u16 v36, v40 offset:30
	;; [unrolled: 1-line block ×6, first 2 shown]
	ds_read_u16 v32, v42
	s_mov_b32 s36, 0xbbad
	s_movk_i32 s35, 0x3abb
	s_mov_b32 s34, 0xb93d
	s_movk_i32 s33, 0x36a6
	s_mov_b32 s31, 0xb08e
	v_cmp_eq_u32_e64 s[0:1], 3, v5
	v_cmp_ne_u32_e64 s[2:3], 3, v5
	v_lshlrev_b32_e32 v43, 1, v17
	v_lshrrev_b32_e32 v16, 16, v9
	v_lshlrev_b32_e32 v44, 1, v4
                                        ; implicit-def: $vgpr17
	s_and_saveexec_b64 s[4:5], s[2:3]
	s_cbranch_execz .LBB0_15
; %bb.14:
	v_add3_u32 v8, 0, v44, v43
	ds_read_u16 v16, v40 offset:38
	ds_read_u16 v9, v40 offset:60
	ds_read_u16 v8, v8
	ds_read_u16 v17, v40 offset:82
.LBB0_15:
	s_or_b64 exec, exec, s[4:5]
	v_add_f16_sdwa v45, v24, v7 dst_sel:DWORD dst_unused:UNUSED_PAD src0_sel:DWORD src1_sel:WORD_1
	v_add_f16_e32 v45, v23, v45
	v_add_f16_e32 v45, v22, v45
	;; [unrolled: 1-line block ×8, first 2 shown]
	v_sub_f16_e32 v2, v2, v28
	v_add_f16_e32 v45, v30, v45
	v_add_f16_e32 v24, v24, v30
	v_mul_f16_e32 v30, 0xb482, v2
	v_sub_f16_e32 v26, v10, v26
	v_fma_f16 v46, v24, s36, -v30
	v_add_f16_e32 v23, v23, v29
	v_mul_f16_e32 v47, 0x3853, v26
	v_sub_f16_e32 v11, v11, v21
	v_add_f16_sdwa v46, v46, v7 dst_sel:DWORD dst_unused:UNUSED_PAD src0_sel:DWORD src1_sel:WORD_1
	v_fma_f16 v10, v23, s35, -v47
	v_add_f16_e32 v22, v22, v27
	v_mul_f16_e32 v27, 0xba0c, v11
	v_sub_f16_e32 v12, v12, v15
	v_add_f16_e32 v10, v10, v46
	v_fma_f16 v46, v22, s34, -v27
	v_add_f16_e32 v19, v19, v25
	v_mul_f16_e32 v25, 0x3b47, v12
	v_add_f16_e32 v10, v46, v10
	v_fma_f16 v46, v19, s33, -v25
	v_add_f16_e32 v46, v46, v10
	v_pk_mul_f16 v10, v2, s18 op_sel_hi:[0,1]
	v_add_f16_e32 v18, v18, v20
	v_sub_f16_e32 v13, v13, v14
	v_pk_fma_f16 v14, v24, s6, v10 op_sel_hi:[0,1,1] neg_lo:[0,0,1] neg_hi:[0,0,1]
	v_pk_mul_f16 v20, v26, s21 op_sel_hi:[0,1]
	v_pk_add_f16 v14, v14, v7 op_sel:[0,1]
	v_pk_fma_f16 v48, v23, s7, v20 op_sel_hi:[0,1,1] neg_lo:[0,0,1] neg_hi:[0,0,1]
	v_pk_add_f16 v14, v48, v14
	v_pk_mul_f16 v48, v11, s23 op_sel_hi:[0,1]
	v_pk_fma_f16 v49, v22, s10, v48 op_sel_hi:[0,1,1] neg_lo:[0,0,1] neg_hi:[0,0,1]
	v_pk_add_f16 v14, v49, v14
	v_pk_mul_f16 v49, v12, s25 op_sel_hi:[0,1]
	;; [unrolled: 3-line block ×3, first 2 shown]
	v_pk_fma_f16 v51, v18, s16, v50 op_sel_hi:[0,1,1] neg_lo:[0,0,1] neg_hi:[0,0,1]
	v_pk_fma_f16 v10, v24, s6, v10 op_sel_hi:[0,1,1]
	v_pk_add_f16 v51, v51, v14
	v_pk_add_f16 v10, v10, v7 op_sel:[0,1]
	v_pk_fma_f16 v14, v23, s7, v20 op_sel_hi:[0,1,1]
	v_pk_add_f16 v10, v14, v10
	v_pk_fma_f16 v14, v22, s10, v48 op_sel_hi:[0,1,1]
	v_pk_add_f16 v10, v14, v10
	;; [unrolled: 2-line block ×4, first 2 shown]
	v_pk_mul_f16 v14, v24, s14 op_sel_hi:[0,1]
	v_pk_mul_f16 v2, v2, s19 op_sel_hi:[0,1]
	v_mul_f16_e32 v28, 0xbbad, v24
	v_add_f16_e32 v20, v14, v2
	v_pk_fma_f16 v24, v24, s14, v2 op_sel_hi:[0,1,1] neg_lo:[0,0,1] neg_hi:[0,0,1]
	v_pk_mul_f16 v48, v23, s17 op_sel_hi:[0,1]
	v_pk_mul_f16 v26, v26, s22 op_sel_hi:[0,1]
	v_mul_f16_e32 v29, 0x3abb, v23
	v_add_f16_sdwa v20, v20, v7 dst_sel:DWORD dst_unused:UNUSED_PAD src0_sel:DWORD src1_sel:WORD_1
	v_pk_add_f16 v24, v24, v7 op_sel:[0,1]
	v_add_f16_e32 v49, v48, v26
	v_pk_fma_f16 v23, v23, s17, v26 op_sel_hi:[0,1,1] neg_lo:[0,0,1] neg_hi:[0,0,1]
	v_bfi_b32 v14, s15, v28, v14
	v_bfi_b32 v2, s15, v30, v2
	v_add_f16_e32 v20, v49, v20
	v_pk_add_f16 v23, v23, v24
	v_pk_mul_f16 v24, v22, s20 op_sel_hi:[0,1]
	v_pk_mul_f16 v49, v11, s26 op_sel_hi:[0,1]
	v_pk_add_f16 v2, v14, v2
	v_add_f16_e32 v11, v24, v49
	v_pk_add_f16 v2, v2, v7 op_sel:[0,1]
	v_bfi_b32 v7, s15, v29, v48
	v_bfi_b32 v14, s15, v47, v26
	v_mul_f16_e32 v21, 0xb93d, v22
	v_add_f16_e32 v11, v11, v20
	v_pk_fma_f16 v20, v22, s20, v49 op_sel_hi:[0,1,1] neg_lo:[0,0,1] neg_hi:[0,0,1]
	v_pk_mul_f16 v22, v19, s24 op_sel_hi:[0,1]
	v_pk_mul_f16 v12, v12, s28 op_sel_hi:[0,1]
	v_pk_add_f16 v7, v7, v14
	v_pk_add_f16 v20, v20, v23
	v_add_f16_e32 v23, v22, v12
	v_pk_add_f16 v2, v7, v2
	v_bfi_b32 v7, s15, v21, v24
	v_bfi_b32 v14, s15, v27, v49
	v_mul_f16_e32 v15, 0x36a6, v19
	v_add_f16_e32 v11, v23, v11
	v_pk_fma_f16 v19, v19, s24, v12 op_sel_hi:[0,1,1] neg_lo:[0,0,1] neg_hi:[0,0,1]
	v_pk_mul_f16 v23, v13, s30 op_sel_hi:[0,1]
	v_pk_add_f16 v7, v7, v14
	v_pk_add_f16 v19, v19, v20
	v_pk_fma_f16 v50, v18, s29, v23 op_sel_hi:[0,1,1] neg_lo:[0,0,1] neg_hi:[0,0,1]
	v_pk_add_f16 v2, v7, v2
	v_bfi_b32 v7, s15, v15, v22
	v_bfi_b32 v12, s15, v25, v12
	v_pk_mul_f16 v20, v18, s29 op_sel_hi:[0,1]
	v_pk_add_f16 v19, v50, v19
	v_mul_f16_e32 v50, 0xb08e, v18
	v_mul_f16_e32 v13, 0xbbeb, v13
	v_pk_add_f16 v7, v7, v12
	v_fma_f16 v18, v18, s31, -v13
	v_pk_add_f16 v2, v7, v2
	v_bfi_b32 v7, s15, v50, v20
	v_bfi_b32 v12, s15, v13, v23
	v_add_f16_e32 v18, v18, v46
	v_pk_add_f16 v7, v7, v12
	v_add_f16_e32 v52, v20, v23
	v_pk_add_f16 v15, v7, v2
	v_alignbit_b32 v14, v18, v19, 16
	v_alignbit_b32 v13, v19, v51, 16
	v_pack_b32_f16 v12, v45, v51
	v_alignbit_b32 v2, v10, v10, 16
	v_add_f16_e32 v11, v52, v11
	s_waitcnt lgkmcnt(0)
	; wave barrier
	s_waitcnt lgkmcnt(0)
	ds_write_b128 v39, v[12:15]
	ds_write_b16 v39, v11 offset:16
	ds_write_b32 v39, v2 offset:18
	s_waitcnt lgkmcnt(0)
	; wave barrier
	s_waitcnt lgkmcnt(0)
	ds_read_u16 v13, v41
	ds_read_u16 v19, v40 offset:22
	ds_read_u16 v21, v40 offset:30
	;; [unrolled: 1-line block ×6, first 2 shown]
	ds_read_u16 v14, v42
	v_lshrrev_b32_e32 v7, 16, v10
                                        ; implicit-def: $vgpr12
	s_and_saveexec_b64 s[4:5], s[2:3]
	s_cbranch_execz .LBB0_17
; %bb.16:
	v_add3_u32 v2, 0, v44, v43
	ds_read_u16 v7, v40 offset:38
	ds_read_u16 v10, v40 offset:60
	ds_read_u16 v11, v2
	ds_read_u16 v12, v40 offset:82
.LBB0_17:
	s_or_b64 exec, exec, s[4:5]
	s_and_saveexec_b64 s[4:5], vcc
	s_cbranch_execz .LBB0_20
; %bb.18:
	v_mul_i32_i24_e32 v2, 3, v3
	v_mov_b32_e32 v3, 0
	v_lshlrev_b64 v[23:24], 2, v[2:3]
	v_mov_b32_e32 v2, s9
	v_add_co_u32_e32 v23, vcc, s8, v23
	v_addc_co_u32_e32 v24, vcc, v2, v24, vcc
	v_mul_u32_u24_e32 v2, 3, v5
	v_lshlrev_b32_e32 v2, 2, v2
	global_load_dwordx3 v[23:25], v[23:24], off
	v_add_co_u32_e32 v0, vcc, s12, v0
	global_load_dwordx3 v[26:28], v2, s[8:9]
	v_mov_b32_e32 v2, s13
	v_addc_co_u32_e32 v1, vcc, v2, v1, vcc
	v_add_co_u32_e32 v0, vcc, v0, v6
	v_addc_co_u32_e32 v1, vcc, 0, v1, vcc
	s_waitcnt vmcnt(1)
	v_lshrrev_b32_e32 v2, 16, v24
	v_mul_f16_e32 v5, v37, v24
	v_mul_f16_sdwa v6, v36, v23 dst_sel:DWORD dst_unused:UNUSED_PAD src0_sel:DWORD src1_sel:WORD_1
	v_mul_f16_sdwa v29, v38, v25 dst_sel:DWORD dst_unused:UNUSED_PAD src0_sel:DWORD src1_sel:WORD_1
	s_waitcnt lgkmcnt(5)
	v_mul_f16_sdwa v30, v21, v23 dst_sel:DWORD dst_unused:UNUSED_PAD src0_sel:DWORD src1_sel:WORD_1
	s_waitcnt lgkmcnt(1)
	v_mul_f16_sdwa v39, v22, v25 dst_sel:DWORD dst_unused:UNUSED_PAD src0_sel:DWORD src1_sel:WORD_1
	s_waitcnt vmcnt(0)
	v_lshrrev_b32_e32 v40, 16, v27
	v_mul_f16_e32 v41, v34, v27
	v_mul_f16_sdwa v42, v33, v26 dst_sel:DWORD dst_unused:UNUSED_PAD src0_sel:DWORD src1_sel:WORD_1
	v_mul_f16_sdwa v43, v35, v28 dst_sel:DWORD dst_unused:UNUSED_PAD src0_sel:DWORD src1_sel:WORD_1
	;; [unrolled: 1-line block ×4, first 2 shown]
	v_fma_f16 v5, v18, v2, v5
	v_fma_f16 v6, v21, v23, -v6
	v_fma_f16 v21, v22, v25, -v29
	v_mul_f16_e32 v2, v37, v2
	v_fma_f16 v22, v36, v23, v30
	v_fma_f16 v23, v38, v25, v39
	;; [unrolled: 1-line block ×3, first 2 shown]
	v_fma_f16 v19, v19, v26, -v42
	v_fma_f16 v20, v20, v28, -v43
	v_mul_f16_e32 v29, v34, v40
	v_fma_f16 v26, v33, v26, v44
	v_fma_f16 v28, v35, v28, v45
	v_sub_f16_e32 v5, v32, v5
	v_sub_f16_e32 v21, v6, v21
	v_fma_f16 v2, v18, v24, -v2
	v_sub_f16_e32 v18, v22, v23
	v_sub_f16_e32 v23, v31, v25
	;; [unrolled: 1-line block ×3, first 2 shown]
	v_fma_f16 v15, v15, v27, -v29
	v_sub_f16_e32 v24, v26, v28
	v_add_f16_e32 v25, v5, v21
	s_waitcnt lgkmcnt(0)
	v_sub_f16_e32 v2, v14, v2
	v_fma_f16 v27, v32, 2.0, -v5
	v_fma_f16 v22, v22, 2.0, -v18
	;; [unrolled: 1-line block ×3, first 2 shown]
	v_add_f16_e32 v21, v23, v20
	v_sub_f16_e32 v15, v13, v15
	v_fma_f16 v28, v31, 2.0, -v23
	v_fma_f16 v26, v26, 2.0, -v24
	;; [unrolled: 1-line block ×3, first 2 shown]
	v_sub_f16_e32 v18, v2, v18
	v_sub_f16_e32 v20, v27, v22
	v_fma_f16 v14, v14, 2.0, -v2
	v_fma_f16 v22, v23, 2.0, -v21
	v_sub_f16_e32 v23, v15, v24
	v_fma_f16 v13, v13, 2.0, -v15
	v_fma_f16 v5, v5, 2.0, -v25
	v_sub_f16_e32 v24, v28, v26
	v_fma_f16 v2, v2, 2.0, -v18
	v_sub_f16_e32 v6, v14, v6
	;; [unrolled: 2-line block ×3, first 2 shown]
	v_fma_f16 v26, v27, 2.0, -v20
	v_fma_f16 v27, v28, 2.0, -v24
	v_pack_b32_f16 v21, v21, v23
	v_fma_f16 v14, v14, 2.0, -v6
	v_fma_f16 v13, v13, 2.0, -v19
	v_pack_b32_f16 v15, v22, v15
	v_pack_b32_f16 v2, v5, v2
	;; [unrolled: 1-line block ×3, first 2 shown]
	global_store_dword v[0:1], v21, off offset:132
	v_pack_b32_f16 v5, v20, v6
	v_pack_b32_f16 v6, v27, v13
	global_store_dword v[0:1], v15, off offset:44
	global_store_dword v[0:1], v19, off offset:88
	v_pack_b32_f16 v13, v26, v14
	global_store_dword v[0:1], v2, off offset:60
	global_store_dword v[0:1], v5, off offset:104
	global_store_dword v[0:1], v6, off
	global_store_dword v[0:1], v13, off offset:16
	v_pack_b32_f16 v2, v25, v18
	global_store_dword v[0:1], v2, off offset:148
	s_and_b64 exec, exec, s[2:3]
	s_cbranch_execz .LBB0_20
; %bb.19:
	v_mul_i32_i24_e32 v2, 3, v4
	v_cndmask_b32_e64 v2, v2, 0, s[0:1]
	v_lshlrev_b64 v[2:3], 2, v[2:3]
	v_mov_b32_e32 v4, s9
	v_add_co_u32_e32 v2, vcc, s8, v2
	v_addc_co_u32_e32 v3, vcc, v4, v3, vcc
	global_load_dwordx3 v[2:4], v[2:3], off
	s_waitcnt vmcnt(0)
	v_mul_f16_sdwa v5, v7, v2 dst_sel:DWORD dst_unused:UNUSED_PAD src0_sel:DWORD src1_sel:WORD_1
	v_mul_f16_sdwa v6, v16, v2 dst_sel:DWORD dst_unused:UNUSED_PAD src0_sel:DWORD src1_sel:WORD_1
	;; [unrolled: 1-line block ×6, first 2 shown]
	v_fma_f16 v5, v16, v2, v5
	v_fma_f16 v2, v7, v2, -v6
	v_fma_f16 v6, v9, v3, v13
	v_fma_f16 v3, v10, v3, -v14
	;; [unrolled: 2-line block ×3, first 2 shown]
	v_sub_f16_e32 v6, v8, v6
	v_sub_f16_e32 v3, v11, v3
	;; [unrolled: 1-line block ×4, first 2 shown]
	v_fma_f16 v8, v8, 2.0, -v6
	v_fma_f16 v9, v11, 2.0, -v3
	;; [unrolled: 1-line block ×4, first 2 shown]
	v_add_f16_e32 v4, v6, v4
	v_sub_f16_e32 v7, v3, v7
	v_sub_f16_e32 v5, v8, v5
	;; [unrolled: 1-line block ×3, first 2 shown]
	v_fma_f16 v6, v6, 2.0, -v4
	v_fma_f16 v3, v3, 2.0, -v7
	v_pack_b32_f16 v4, v4, v7
	v_fma_f16 v7, v8, 2.0, -v5
	v_fma_f16 v8, v9, 2.0, -v2
	v_pack_b32_f16 v3, v6, v3
	v_pack_b32_f16 v2, v5, v2
	v_pack_b32_f16 v5, v7, v8
	global_store_dword v[0:1], v3, off offset:76
	global_store_dword v[0:1], v2, off offset:120
	;; [unrolled: 1-line block ×4, first 2 shown]
.LBB0_20:
	s_endpgm
	.section	.rodata,"a",@progbits
	.p2align	6, 0x0
	.amdhsa_kernel fft_rtc_back_len44_factors_11_4_wgs_64_tpt_4_halfLds_half_ip_CI_unitstride_sbrr_dirReg
		.amdhsa_group_segment_fixed_size 0
		.amdhsa_private_segment_fixed_size 0
		.amdhsa_kernarg_size 88
		.amdhsa_user_sgpr_count 6
		.amdhsa_user_sgpr_private_segment_buffer 1
		.amdhsa_user_sgpr_dispatch_ptr 0
		.amdhsa_user_sgpr_queue_ptr 0
		.amdhsa_user_sgpr_kernarg_segment_ptr 1
		.amdhsa_user_sgpr_dispatch_id 0
		.amdhsa_user_sgpr_flat_scratch_init 0
		.amdhsa_user_sgpr_private_segment_size 0
		.amdhsa_uses_dynamic_stack 0
		.amdhsa_system_sgpr_private_segment_wavefront_offset 0
		.amdhsa_system_sgpr_workgroup_id_x 1
		.amdhsa_system_sgpr_workgroup_id_y 0
		.amdhsa_system_sgpr_workgroup_id_z 0
		.amdhsa_system_sgpr_workgroup_info 0
		.amdhsa_system_vgpr_workitem_id 0
		.amdhsa_next_free_vgpr 58
		.amdhsa_next_free_sgpr 37
		.amdhsa_reserve_vcc 1
		.amdhsa_reserve_flat_scratch 0
		.amdhsa_float_round_mode_32 0
		.amdhsa_float_round_mode_16_64 0
		.amdhsa_float_denorm_mode_32 3
		.amdhsa_float_denorm_mode_16_64 3
		.amdhsa_dx10_clamp 1
		.amdhsa_ieee_mode 1
		.amdhsa_fp16_overflow 0
		.amdhsa_exception_fp_ieee_invalid_op 0
		.amdhsa_exception_fp_denorm_src 0
		.amdhsa_exception_fp_ieee_div_zero 0
		.amdhsa_exception_fp_ieee_overflow 0
		.amdhsa_exception_fp_ieee_underflow 0
		.amdhsa_exception_fp_ieee_inexact 0
		.amdhsa_exception_int_div_zero 0
	.end_amdhsa_kernel
	.text
.Lfunc_end0:
	.size	fft_rtc_back_len44_factors_11_4_wgs_64_tpt_4_halfLds_half_ip_CI_unitstride_sbrr_dirReg, .Lfunc_end0-fft_rtc_back_len44_factors_11_4_wgs_64_tpt_4_halfLds_half_ip_CI_unitstride_sbrr_dirReg
                                        ; -- End function
	.section	.AMDGPU.csdata,"",@progbits
; Kernel info:
; codeLenInByte = 4524
; NumSgprs: 41
; NumVgprs: 58
; ScratchSize: 0
; MemoryBound: 0
; FloatMode: 240
; IeeeMode: 1
; LDSByteSize: 0 bytes/workgroup (compile time only)
; SGPRBlocks: 5
; VGPRBlocks: 14
; NumSGPRsForWavesPerEU: 41
; NumVGPRsForWavesPerEU: 58
; Occupancy: 4
; WaveLimiterHint : 1
; COMPUTE_PGM_RSRC2:SCRATCH_EN: 0
; COMPUTE_PGM_RSRC2:USER_SGPR: 6
; COMPUTE_PGM_RSRC2:TRAP_HANDLER: 0
; COMPUTE_PGM_RSRC2:TGID_X_EN: 1
; COMPUTE_PGM_RSRC2:TGID_Y_EN: 0
; COMPUTE_PGM_RSRC2:TGID_Z_EN: 0
; COMPUTE_PGM_RSRC2:TIDIG_COMP_CNT: 0
	.type	__hip_cuid_ee164193fcf6d3f7,@object ; @__hip_cuid_ee164193fcf6d3f7
	.section	.bss,"aw",@nobits
	.globl	__hip_cuid_ee164193fcf6d3f7
__hip_cuid_ee164193fcf6d3f7:
	.byte	0                               ; 0x0
	.size	__hip_cuid_ee164193fcf6d3f7, 1

	.ident	"AMD clang version 19.0.0git (https://github.com/RadeonOpenCompute/llvm-project roc-6.4.0 25133 c7fe45cf4b819c5991fe208aaa96edf142730f1d)"
	.section	".note.GNU-stack","",@progbits
	.addrsig
	.addrsig_sym __hip_cuid_ee164193fcf6d3f7
	.amdgpu_metadata
---
amdhsa.kernels:
  - .args:
      - .actual_access:  read_only
        .address_space:  global
        .offset:         0
        .size:           8
        .value_kind:     global_buffer
      - .offset:         8
        .size:           8
        .value_kind:     by_value
      - .actual_access:  read_only
        .address_space:  global
        .offset:         16
        .size:           8
        .value_kind:     global_buffer
      - .actual_access:  read_only
        .address_space:  global
        .offset:         24
        .size:           8
        .value_kind:     global_buffer
      - .offset:         32
        .size:           8
        .value_kind:     by_value
      - .actual_access:  read_only
        .address_space:  global
        .offset:         40
        .size:           8
        .value_kind:     global_buffer
      - .actual_access:  read_only
        .address_space:  global
        .offset:         48
        .size:           8
        .value_kind:     global_buffer
      - .offset:         56
        .size:           4
        .value_kind:     by_value
      - .actual_access:  read_only
        .address_space:  global
        .offset:         64
        .size:           8
        .value_kind:     global_buffer
      - .actual_access:  read_only
        .address_space:  global
        .offset:         72
        .size:           8
        .value_kind:     global_buffer
      - .address_space:  global
        .offset:         80
        .size:           8
        .value_kind:     global_buffer
    .group_segment_fixed_size: 0
    .kernarg_segment_align: 8
    .kernarg_segment_size: 88
    .language:       OpenCL C
    .language_version:
      - 2
      - 0
    .max_flat_workgroup_size: 64
    .name:           fft_rtc_back_len44_factors_11_4_wgs_64_tpt_4_halfLds_half_ip_CI_unitstride_sbrr_dirReg
    .private_segment_fixed_size: 0
    .sgpr_count:     41
    .sgpr_spill_count: 0
    .symbol:         fft_rtc_back_len44_factors_11_4_wgs_64_tpt_4_halfLds_half_ip_CI_unitstride_sbrr_dirReg.kd
    .uniform_work_group_size: 1
    .uses_dynamic_stack: false
    .vgpr_count:     58
    .vgpr_spill_count: 0
    .wavefront_size: 64
amdhsa.target:   amdgcn-amd-amdhsa--gfx906
amdhsa.version:
  - 1
  - 2
...

	.end_amdgpu_metadata
